;; amdgpu-corpus repo=ROCm/rocFFT kind=compiled arch=gfx950 opt=O3
	.text
	.amdgcn_target "amdgcn-amd-amdhsa--gfx950"
	.amdhsa_code_object_version 6
	.protected	fft_rtc_fwd_len252_factors_7_3_3_4_wgs_63_tpt_63_dp_ip_CI_unitstride_sbrr_dirReg ; -- Begin function fft_rtc_fwd_len252_factors_7_3_3_4_wgs_63_tpt_63_dp_ip_CI_unitstride_sbrr_dirReg
	.globl	fft_rtc_fwd_len252_factors_7_3_3_4_wgs_63_tpt_63_dp_ip_CI_unitstride_sbrr_dirReg
	.p2align	8
	.type	fft_rtc_fwd_len252_factors_7_3_3_4_wgs_63_tpt_63_dp_ip_CI_unitstride_sbrr_dirReg,@function
fft_rtc_fwd_len252_factors_7_3_3_4_wgs_63_tpt_63_dp_ip_CI_unitstride_sbrr_dirReg: ; @fft_rtc_fwd_len252_factors_7_3_3_4_wgs_63_tpt_63_dp_ip_CI_unitstride_sbrr_dirReg
; %bb.0:
	s_load_dwordx2 s[8:9], s[0:1], 0x50
	s_load_dwordx4 s[4:7], s[0:1], 0x0
	s_load_dwordx2 s[10:11], s[0:1], 0x18
	v_mul_u32_u24_e32 v1, 0x411, v0
	v_add_u32_sdwa v6, s2, v1 dst_sel:DWORD dst_unused:UNUSED_PAD src0_sel:DWORD src1_sel:WORD_1
	v_mov_b32_e32 v4, 0
	s_waitcnt lgkmcnt(0)
	v_cmp_lt_u64_e64 s[2:3], s[6:7], 2
	v_mov_b32_e32 v7, v4
	s_and_b64 vcc, exec, s[2:3]
	v_mov_b64_e32 v[2:3], 0
	s_cbranch_vccnz .LBB0_8
; %bb.1:
	s_load_dwordx2 s[2:3], s[0:1], 0x10
	s_add_u32 s12, s10, 8
	s_addc_u32 s13, s11, 0
	s_mov_b64 s[14:15], 1
	v_mov_b64_e32 v[2:3], 0
	s_waitcnt lgkmcnt(0)
	s_add_u32 s16, s2, 8
	s_addc_u32 s17, s3, 0
.LBB0_2:                                ; =>This Inner Loop Header: Depth=1
	s_load_dwordx2 s[18:19], s[16:17], 0x0
                                        ; implicit-def: $vgpr8_vgpr9
	s_waitcnt lgkmcnt(0)
	v_or_b32_e32 v5, s19, v7
	v_cmp_ne_u64_e32 vcc, 0, v[4:5]
	s_and_saveexec_b64 s[2:3], vcc
	s_xor_b64 s[20:21], exec, s[2:3]
	s_cbranch_execz .LBB0_4
; %bb.3:                                ;   in Loop: Header=BB0_2 Depth=1
	v_cvt_f32_u32_e32 v1, s18
	v_cvt_f32_u32_e32 v5, s19
	s_sub_u32 s2, 0, s18
	s_subb_u32 s3, 0, s19
	v_fmac_f32_e32 v1, 0x4f800000, v5
	v_rcp_f32_e32 v1, v1
	s_nop 0
	v_mul_f32_e32 v1, 0x5f7ffffc, v1
	v_mul_f32_e32 v5, 0x2f800000, v1
	v_trunc_f32_e32 v5, v5
	v_fmac_f32_e32 v1, 0xcf800000, v5
	v_cvt_u32_f32_e32 v5, v5
	v_cvt_u32_f32_e32 v1, v1
	v_mul_lo_u32 v8, s2, v5
	v_mul_hi_u32 v10, s2, v1
	v_mul_lo_u32 v9, s3, v1
	v_add_u32_e32 v10, v10, v8
	v_mul_lo_u32 v12, s2, v1
	v_add_u32_e32 v13, v10, v9
	v_mul_hi_u32 v8, v1, v12
	v_mul_hi_u32 v11, v1, v13
	v_mul_lo_u32 v10, v1, v13
	v_mov_b32_e32 v9, v4
	v_lshl_add_u64 v[8:9], v[8:9], 0, v[10:11]
	v_mul_hi_u32 v11, v5, v12
	v_mul_lo_u32 v12, v5, v12
	v_add_co_u32_e32 v8, vcc, v8, v12
	v_mul_hi_u32 v10, v5, v13
	s_nop 0
	v_addc_co_u32_e32 v8, vcc, v9, v11, vcc
	v_mov_b32_e32 v9, v4
	s_nop 0
	v_addc_co_u32_e32 v11, vcc, 0, v10, vcc
	v_mul_lo_u32 v10, v5, v13
	v_lshl_add_u64 v[8:9], v[8:9], 0, v[10:11]
	v_add_co_u32_e32 v1, vcc, v1, v8
	v_mul_lo_u32 v10, s2, v1
	s_nop 0
	v_addc_co_u32_e32 v5, vcc, v5, v9, vcc
	v_mul_lo_u32 v8, s2, v5
	v_mul_hi_u32 v9, s2, v1
	v_add_u32_e32 v8, v9, v8
	v_mul_lo_u32 v9, s3, v1
	v_add_u32_e32 v12, v8, v9
	v_mul_hi_u32 v14, v5, v10
	v_mul_lo_u32 v15, v5, v10
	v_mul_hi_u32 v9, v1, v12
	v_mul_lo_u32 v8, v1, v12
	v_mul_hi_u32 v10, v1, v10
	v_mov_b32_e32 v11, v4
	v_lshl_add_u64 v[8:9], v[10:11], 0, v[8:9]
	v_add_co_u32_e32 v8, vcc, v8, v15
	v_mul_hi_u32 v13, v5, v12
	s_nop 0
	v_addc_co_u32_e32 v8, vcc, v9, v14, vcc
	v_mul_lo_u32 v10, v5, v12
	s_nop 0
	v_addc_co_u32_e32 v11, vcc, 0, v13, vcc
	v_mov_b32_e32 v9, v4
	v_lshl_add_u64 v[8:9], v[8:9], 0, v[10:11]
	v_add_co_u32_e32 v1, vcc, v1, v8
	v_mul_hi_u32 v10, v6, v1
	s_nop 0
	v_addc_co_u32_e32 v5, vcc, v5, v9, vcc
	v_mad_u64_u32 v[8:9], s[2:3], v6, v5, 0
	v_mov_b32_e32 v11, v4
	v_lshl_add_u64 v[8:9], v[10:11], 0, v[8:9]
	v_mad_u64_u32 v[12:13], s[2:3], v7, v1, 0
	v_add_co_u32_e32 v1, vcc, v8, v12
	v_mad_u64_u32 v[10:11], s[2:3], v7, v5, 0
	s_nop 0
	v_addc_co_u32_e32 v8, vcc, v9, v13, vcc
	v_mov_b32_e32 v9, v4
	s_nop 0
	v_addc_co_u32_e32 v11, vcc, 0, v11, vcc
	v_lshl_add_u64 v[8:9], v[8:9], 0, v[10:11]
	v_mul_lo_u32 v1, s19, v8
	v_mul_lo_u32 v5, s18, v9
	v_mad_u64_u32 v[10:11], s[2:3], s18, v8, 0
	v_add3_u32 v1, v11, v5, v1
	v_sub_u32_e32 v5, v7, v1
	v_mov_b32_e32 v11, s19
	v_sub_co_u32_e32 v14, vcc, v6, v10
	v_lshl_add_u64 v[12:13], v[8:9], 0, 1
	s_nop 0
	v_subb_co_u32_e64 v5, s[2:3], v5, v11, vcc
	v_subrev_co_u32_e64 v10, s[2:3], s18, v14
	v_subb_co_u32_e32 v1, vcc, v7, v1, vcc
	s_nop 0
	v_subbrev_co_u32_e64 v5, s[2:3], 0, v5, s[2:3]
	v_cmp_le_u32_e64 s[2:3], s19, v5
	v_cmp_le_u32_e32 vcc, s19, v1
	s_nop 0
	v_cndmask_b32_e64 v11, 0, -1, s[2:3]
	v_cmp_le_u32_e64 s[2:3], s18, v10
	s_nop 1
	v_cndmask_b32_e64 v10, 0, -1, s[2:3]
	v_cmp_eq_u32_e64 s[2:3], s19, v5
	s_nop 1
	v_cndmask_b32_e64 v5, v11, v10, s[2:3]
	v_lshl_add_u64 v[10:11], v[8:9], 0, 2
	v_cmp_ne_u32_e64 s[2:3], 0, v5
	s_nop 1
	v_cndmask_b32_e64 v5, v13, v11, s[2:3]
	v_cndmask_b32_e64 v11, 0, -1, vcc
	v_cmp_le_u32_e32 vcc, s18, v14
	s_nop 1
	v_cndmask_b32_e64 v13, 0, -1, vcc
	v_cmp_eq_u32_e32 vcc, s19, v1
	s_nop 1
	v_cndmask_b32_e32 v1, v11, v13, vcc
	v_cmp_ne_u32_e32 vcc, 0, v1
	v_cndmask_b32_e64 v1, v12, v10, s[2:3]
	s_nop 0
	v_cndmask_b32_e32 v9, v9, v5, vcc
	v_cndmask_b32_e32 v8, v8, v1, vcc
.LBB0_4:                                ;   in Loop: Header=BB0_2 Depth=1
	s_andn2_saveexec_b64 s[2:3], s[20:21]
	s_cbranch_execz .LBB0_6
; %bb.5:                                ;   in Loop: Header=BB0_2 Depth=1
	v_cvt_f32_u32_e32 v1, s18
	s_sub_i32 s20, 0, s18
	v_rcp_iflag_f32_e32 v1, v1
	s_nop 0
	v_mul_f32_e32 v1, 0x4f7ffffe, v1
	v_cvt_u32_f32_e32 v1, v1
	v_mul_lo_u32 v5, s20, v1
	v_mul_hi_u32 v5, v1, v5
	v_add_u32_e32 v1, v1, v5
	v_mul_hi_u32 v1, v6, v1
	v_mul_lo_u32 v5, v1, s18
	v_sub_u32_e32 v5, v6, v5
	v_add_u32_e32 v8, 1, v1
	v_subrev_u32_e32 v9, s18, v5
	v_cmp_le_u32_e32 vcc, s18, v5
	s_nop 1
	v_cndmask_b32_e32 v5, v5, v9, vcc
	v_cndmask_b32_e32 v1, v1, v8, vcc
	v_add_u32_e32 v8, 1, v1
	v_cmp_le_u32_e32 vcc, s18, v5
	v_mov_b32_e32 v9, v4
	s_nop 0
	v_cndmask_b32_e32 v8, v1, v8, vcc
.LBB0_6:                                ;   in Loop: Header=BB0_2 Depth=1
	s_or_b64 exec, exec, s[2:3]
	v_mad_u64_u32 v[10:11], s[2:3], v8, s18, 0
	s_load_dwordx2 s[2:3], s[12:13], 0x0
	v_mul_lo_u32 v1, v9, s18
	v_mul_lo_u32 v5, v8, s19
	v_add3_u32 v1, v11, v5, v1
	v_sub_co_u32_e32 v5, vcc, v6, v10
	s_add_u32 s14, s14, 1
	s_nop 0
	v_subb_co_u32_e32 v1, vcc, v7, v1, vcc
	s_addc_u32 s15, s15, 0
	s_waitcnt lgkmcnt(0)
	v_mul_lo_u32 v1, s2, v1
	v_mul_lo_u32 v6, s3, v5
	v_mad_u64_u32 v[2:3], s[2:3], s2, v5, v[2:3]
	s_add_u32 s12, s12, 8
	v_add3_u32 v3, v6, v3, v1
	s_addc_u32 s13, s13, 0
	v_mov_b64_e32 v[6:7], s[6:7]
	s_add_u32 s16, s16, 8
	v_cmp_ge_u64_e32 vcc, s[14:15], v[6:7]
	s_addc_u32 s17, s17, 0
	s_cbranch_vccnz .LBB0_9
; %bb.7:                                ;   in Loop: Header=BB0_2 Depth=1
	v_mov_b64_e32 v[6:7], v[8:9]
	s_branch .LBB0_2
.LBB0_8:
	v_mov_b64_e32 v[8:9], v[6:7]
.LBB0_9:
	s_lshl_b64 s[2:3], s[6:7], 3
	s_add_u32 s2, s10, s2
	s_addc_u32 s3, s11, s3
	s_load_dwordx2 s[6:7], s[2:3], 0x0
	s_load_dwordx2 s[10:11], s[0:1], 0x20
	s_waitcnt lgkmcnt(0)
	v_mad_u64_u32 v[2:3], s[0:1], s6, v8, v[2:3]
	v_mul_lo_u32 v1, s6, v9
	v_mul_lo_u32 v4, s7, v8
	s_mov_b32 s0, 0x4104105
	v_add3_u32 v3, v4, v3, v1
	v_mul_hi_u32 v1, v0, s0
	v_mul_u32_u24_e32 v1, 63, v1
	v_sub_u32_e32 v24, v0, v1
	v_cmp_gt_u64_e32 vcc, s[10:11], v[8:9]
	v_lshl_add_u64 v[26:27], v[2:3], 4, s[8:9]
	v_lshl_add_u32 v52, v24, 4, 0
	s_and_saveexec_b64 s[0:1], vcc
	s_cbranch_execz .LBB0_11
; %bb.10:
	v_mov_b32_e32 v25, 0
	v_lshl_add_u64 v[16:17], v[24:25], 4, v[26:27]
	global_load_dwordx4 v[0:3], v[16:17], off
	global_load_dwordx4 v[4:7], v[16:17], off offset:1008
	global_load_dwordx4 v[8:11], v[16:17], off offset:2016
	;; [unrolled: 1-line block ×3, first 2 shown]
	s_waitcnt vmcnt(3)
	ds_write_b128 v52, v[0:3]
	s_waitcnt vmcnt(2)
	ds_write_b128 v52, v[4:7] offset:1008
	s_waitcnt vmcnt(1)
	ds_write_b128 v52, v[8:11] offset:2016
	;; [unrolled: 2-line block ×3, first 2 shown]
.LBB0_11:
	s_or_b64 exec, exec, s[0:1]
	s_waitcnt lgkmcnt(0)
	; wave barrier
	s_waitcnt lgkmcnt(0)
	ds_read_b128 v[0:3], v52
	ds_read_b128 v[4:7], v52 offset:576
	ds_read_b128 v[8:11], v52 offset:3456
	;; [unrolled: 1-line block ×6, first 2 shown]
	s_waitcnt lgkmcnt(4)
	v_add_f64 v[32:33], v[4:5], v[8:9]
	v_add_f64 v[34:35], v[6:7], v[10:11]
	v_add_f64 v[4:5], v[4:5], -v[8:9]
	v_add_f64 v[6:7], v[6:7], -v[10:11]
	s_waitcnt lgkmcnt(0)
	v_add_f64 v[8:9], v[12:13], v[28:29]
	v_add_f64 v[10:11], v[14:15], v[30:31]
	v_add_f64 v[12:13], v[12:13], -v[28:29]
	v_add_f64 v[14:15], v[14:15], -v[30:31]
	v_add_f64 v[28:29], v[16:17], v[20:21]
	v_add_f64 v[30:31], v[18:19], v[22:23]
	s_mov_b32 s0, 0x37e14327
	v_add_f64 v[16:17], v[20:21], -v[16:17]
	v_add_f64 v[18:19], v[22:23], -v[18:19]
	v_add_f64 v[20:21], v[8:9], v[32:33]
	v_add_f64 v[22:23], v[10:11], v[34:35]
	v_add_f64 v[44:45], v[8:9], -v[32:33]
	v_add_f64 v[46:47], v[10:11], -v[34:35]
	;; [unrolled: 1-line block ×4, first 2 shown]
	s_mov_b32 s1, 0x3fe948f6
	v_add_f64 v[10:11], v[30:31], -v[10:11]
	v_add_f64 v[54:55], v[28:29], v[20:21]
	v_add_f64 v[56:57], v[30:31], v[22:23]
	v_mul_f64 v[20:21], v[32:33], s[0:1]
	v_mul_f64 v[30:31], v[34:35], s[0:1]
	s_mov_b32 s0, 0x36b3c0b5
	v_add_f64 v[8:9], v[28:29], -v[8:9]
	s_mov_b32 s1, 0x3fac98ee
	v_mul_f64 v[32:33], v[8:9], s[0:1]
	v_mul_f64 v[34:35], v[10:11], s[0:1]
	s_mov_b32 s0, 0xe976ee23
	v_add_f64 v[36:37], v[16:17], v[12:13]
	v_add_f64 v[38:39], v[18:19], v[14:15]
	v_add_f64 v[40:41], v[16:17], -v[12:13]
	v_add_f64 v[42:43], v[18:19], -v[14:15]
	s_mov_b32 s1, 0xbfe11646
	s_mov_b32 s2, 0xaaaaaaaa
	v_add_f64 v[48:49], v[12:13], -v[4:5]
	v_add_f64 v[50:51], v[14:15], -v[6:7]
	v_add_f64 v[22:23], v[36:37], v[4:5]
	v_add_f64 v[28:29], v[38:39], v[6:7]
	;; [unrolled: 1-line block ×4, first 2 shown]
	v_mul_f64 v[38:39], v[40:41], s[0:1]
	v_mul_f64 v[36:37], v[42:43], s[0:1]
	s_mov_b32 s0, 0x429ad128
	s_mov_b32 s3, 0xbff2aaaa
	;; [unrolled: 1-line block ×3, first 2 shown]
	v_fma_f64 v[40:41], s[2:3], v[54:55], v[12:13]
	v_fma_f64 v[42:43], s[2:3], v[56:57], v[14:15]
	s_mov_b32 s3, 0x3fe77f67
	s_mov_b32 s2, 0x5476071b
	v_add_f64 v[16:17], v[4:5], -v[16:17]
	v_add_f64 v[18:19], v[6:7], -v[18:19]
	s_mov_b32 s6, 0x37c3f68c
	s_mov_b32 s8, 0xb247c609
	v_mul_f64 v[0:1], v[48:49], s[0:1]
	v_mul_f64 v[2:3], v[50:51], s[0:1]
	v_fma_f64 v[4:5], v[44:45], s[2:3], -v[32:33]
	v_fma_f64 v[6:7], v[46:47], s[2:3], -v[34:35]
	s_mov_b32 s3, 0xbfe77f67
	s_mov_b32 s9, 0xbfd5d0dc
	;; [unrolled: 1-line block ×3, first 2 shown]
	v_fma_f64 v[8:9], v[44:45], s[2:3], -v[20:21]
	v_fma_f64 v[10:11], v[46:47], s[2:3], -v[30:31]
	;; [unrolled: 1-line block ×6, first 2 shown]
	v_add_f64 v[4:5], v[4:5], v[40:41]
	v_add_f64 v[6:7], v[6:7], v[42:43]
	;; [unrolled: 1-line block ×4, first 2 shown]
	v_fmac_f64_e32 v[54:55], s[6:7], v[22:23]
	v_fmac_f64_e32 v[56:57], s[6:7], v[28:29]
	;; [unrolled: 1-line block ×4, first 2 shown]
	v_add_f64 v[0:1], v[4:5], -v[56:57]
	v_add_f64 v[2:3], v[54:55], v[6:7]
	v_add_f64 v[4:5], v[4:5], v[56:57]
	v_add_f64 v[6:7], v[6:7], -v[54:55]
	v_add_f64 v[8:9], v[48:49], -v[44:45]
	v_add_f64 v[10:11], v[46:47], v[50:51]
	v_cmp_gt_u32_e64 s[0:1], 36, v24
	s_waitcnt lgkmcnt(0)
	; wave barrier
	s_and_saveexec_b64 s[2:3], s[0:1]
	s_cbranch_execz .LBB0_13
; %bb.12:
	s_mov_b32 s9, 0x3fd5d0dc
	v_mul_f64 v[16:17], v[16:17], s[8:9]
	v_mul_f64 v[22:23], v[22:23], s[6:7]
	v_add_f64 v[16:17], v[38:39], v[16:17]
	v_add_f64 v[38:39], v[22:23], v[16:17]
	;; [unrolled: 1-line block ×3, first 2 shown]
	v_mul_f64 v[54:55], v[18:19], s[8:9]
	v_add_f64 v[30:31], v[16:17], v[42:43]
	v_add_f64 v[16:17], v[32:33], v[20:21]
	v_mul_f64 v[28:29], v[28:29], s[6:7]
	v_add_f64 v[32:33], v[16:17], v[40:41]
	v_add_f64 v[16:17], v[36:37], v[54:55]
	s_movk_i32 s0, 0x60
	v_add_f64 v[28:29], v[28:29], v[16:17]
	v_mad_u32_u24 v25, v24, s0, v52
	v_add_f64 v[18:19], v[38:39], v[30:31]
	v_add_f64 v[16:17], v[32:33], -v[28:29]
	v_add_f64 v[22:23], v[50:51], -v[46:47]
	v_add_f64 v[20:21], v[48:49], v[44:45]
	v_add_f64 v[30:31], v[30:31], -v[38:39]
	v_add_f64 v[28:29], v[32:33], v[28:29]
	ds_write_b128 v25, v[12:15]
	ds_write_b128 v25, v[28:31] offset:16
	ds_write_b128 v25, v[20:23] offset:32
	;; [unrolled: 1-line block ×6, first 2 shown]
.LBB0_13:
	s_or_b64 exec, exec, s[2:3]
	s_waitcnt lgkmcnt(0)
	; wave barrier
	s_waitcnt lgkmcnt(0)
	ds_read_b128 v[12:15], v52
	ds_read_b128 v[20:23], v52 offset:1344
	ds_read_b128 v[16:19], v52 offset:2688
	v_cmp_gt_u32_e64 s[0:1], 21, v24
	s_and_saveexec_b64 s[2:3], s[0:1]
	s_cbranch_execz .LBB0_15
; %bb.14:
	ds_read_b128 v[0:3], v52 offset:1008
	ds_read_b128 v[4:7], v52 offset:2352
	;; [unrolled: 1-line block ×3, first 2 shown]
.LBB0_15:
	s_or_b64 exec, exec, s[2:3]
	v_mov_b32_e32 v28, 37
	v_mul_lo_u16_sdwa v25, v24, v28 dst_sel:DWORD dst_unused:UNUSED_PAD src0_sel:BYTE_0 src1_sel:DWORD
	v_sub_u16_sdwa v29, v24, v25 dst_sel:DWORD dst_unused:UNUSED_PAD src0_sel:DWORD src1_sel:BYTE_1
	v_lshrrev_b16_e32 v29, 1, v29
	v_and_b32_e32 v29, 0x7f, v29
	v_add_u16_sdwa v25, v29, v25 dst_sel:DWORD dst_unused:UNUSED_PAD src0_sel:DWORD src1_sel:BYTE_1
	v_lshrrev_b16_e32 v31, 2, v25
	v_mul_lo_u16_e32 v25, 7, v31
	v_sub_u16_e32 v48, v24, v25
	v_mov_b32_e32 v30, 5
	v_lshlrev_b32_sdwa v25, v30, v48 dst_sel:DWORD dst_unused:UNUSED_PAD src0_sel:DWORD src1_sel:BYTE_0
	global_load_dwordx4 v[32:35], v25, s[4:5] offset:16
	global_load_dwordx4 v[36:39], v25, s[4:5]
	v_add_u16_e32 v25, 63, v24
	v_mul_lo_u16_sdwa v28, v25, v28 dst_sel:DWORD dst_unused:UNUSED_PAD src0_sel:BYTE_0 src1_sel:DWORD
	v_sub_u16_sdwa v29, v25, v28 dst_sel:DWORD dst_unused:UNUSED_PAD src0_sel:DWORD src1_sel:BYTE_1
	v_lshrrev_b16_e32 v29, 1, v29
	v_and_b32_e32 v29, 0x7f, v29
	v_add_u16_sdwa v28, v29, v28 dst_sel:DWORD dst_unused:UNUSED_PAD src0_sel:DWORD src1_sel:BYTE_1
	v_lshrrev_b16_e32 v28, 2, v28
	v_mul_lo_u16_e32 v29, 7, v28
	v_sub_u16_e32 v29, v25, v29
	v_lshlrev_b32_sdwa v30, v30, v29 dst_sel:DWORD dst_unused:UNUSED_PAD src0_sel:DWORD src1_sel:BYTE_0
	global_load_dwordx4 v[40:43], v30, s[4:5]
	global_load_dwordx4 v[44:47], v30, s[4:5] offset:16
	v_mov_b32_e32 v30, 4
	v_mul_u32_u24_e32 v31, 0x150, v31
	v_lshlrev_b32_sdwa v48, v30, v48 dst_sel:DWORD dst_unused:UNUSED_PAD src0_sel:DWORD src1_sel:BYTE_0
	v_add3_u32 v31, 0, v31, v48
	s_mov_b32 s2, 0xe8584caa
	s_mov_b32 s3, 0x3febb67a
	;; [unrolled: 1-line block ×4, first 2 shown]
	s_waitcnt lgkmcnt(0)
	; wave barrier
	s_waitcnt vmcnt(3) lgkmcnt(0)
	v_mul_f64 v[50:51], v[18:19], v[34:35]
	s_waitcnt vmcnt(2)
	v_mul_f64 v[48:49], v[22:23], v[38:39]
	v_mul_f64 v[38:39], v[20:21], v[38:39]
	v_fma_f64 v[20:21], v[20:21], v[36:37], -v[48:49]
	v_fmac_f64_e32 v[38:39], v[22:23], v[36:37]
	v_mul_f64 v[34:35], v[16:17], v[34:35]
	v_fma_f64 v[16:17], v[16:17], v[32:33], -v[50:51]
	v_fmac_f64_e32 v[34:35], v[18:19], v[32:33]
	v_add_f64 v[18:19], v[14:15], v[38:39]
	v_add_f64 v[32:33], v[38:39], v[34:35]
	;; [unrolled: 1-line block ×3, first 2 shown]
	s_waitcnt vmcnt(1)
	v_mul_f64 v[54:55], v[6:7], v[42:43]
	v_mul_f64 v[42:43], v[4:5], v[42:43]
	s_waitcnt vmcnt(0)
	v_mul_f64 v[22:23], v[10:11], v[46:47]
	v_mul_f64 v[36:37], v[8:9], v[46:47]
	v_fma_f64 v[4:5], v[4:5], v[40:41], -v[54:55]
	v_fmac_f64_e32 v[42:43], v[6:7], v[40:41]
	v_fma_f64 v[6:7], v[8:9], v[44:45], -v[22:23]
	v_fmac_f64_e32 v[36:37], v[10:11], v[44:45]
	v_add_f64 v[40:41], v[4:5], v[6:7]
	v_add_f64 v[44:45], v[42:43], -v[36:37]
	v_add_f64 v[46:47], v[2:3], v[42:43]
	v_add_f64 v[42:43], v[42:43], v[36:37]
	;; [unrolled: 1-line block ×4, first 2 shown]
	v_add_f64 v[22:23], v[38:39], -v[34:35]
	v_add_f64 v[38:39], v[20:21], -v[16:17]
	v_add_f64 v[20:21], v[0:1], v[4:5]
	v_add_f64 v[48:49], v[4:5], -v[6:7]
	v_fmac_f64_e32 v[0:1], -0.5, v[40:41]
	v_fmac_f64_e32 v[2:3], -0.5, v[42:43]
	v_add_f64 v[16:17], v[8:9], v[16:17]
	v_fmac_f64_e32 v[12:13], -0.5, v[10:11]
	v_fmac_f64_e32 v[14:15], -0.5, v[32:33]
	v_add_f64 v[4:5], v[20:21], v[6:7]
	v_add_f64 v[6:7], v[46:47], v[36:37]
	v_fma_f64 v[8:9], s[2:3], v[44:45], v[0:1]
	v_fmac_f64_e32 v[0:1], s[6:7], v[44:45]
	v_fma_f64 v[10:11], s[6:7], v[48:49], v[2:3]
	v_fmac_f64_e32 v[2:3], s[2:3], v[48:49]
	;; [unrolled: 2-line block ×4, first 2 shown]
	ds_write_b128 v31, v[16:19]
	ds_write_b128 v31, v[20:23] offset:112
	ds_write_b128 v31, v[12:15] offset:224
	s_and_saveexec_b64 s[2:3], s[0:1]
	s_cbranch_execz .LBB0_17
; %bb.16:
	v_mul_u32_u24_e32 v12, 0x150, v28
	v_lshlrev_b32_sdwa v13, v30, v29 dst_sel:DWORD dst_unused:UNUSED_PAD src0_sel:DWORD src1_sel:BYTE_0
	v_add3_u32 v12, 0, v12, v13
	ds_write_b128 v12, v[4:7]
	ds_write_b128 v12, v[8:11] offset:112
	ds_write_b128 v12, v[0:3] offset:224
.LBB0_17:
	s_or_b64 exec, exec, s[2:3]
	s_waitcnt lgkmcnt(0)
	; wave barrier
	s_waitcnt lgkmcnt(0)
	ds_read_b128 v[12:15], v52
	ds_read_b128 v[20:23], v52 offset:1344
	ds_read_b128 v[16:19], v52 offset:2688
	s_and_saveexec_b64 s[2:3], s[0:1]
	s_cbranch_execz .LBB0_19
; %bb.18:
	ds_read_b128 v[4:7], v52 offset:1008
	ds_read_b128 v[8:11], v52 offset:2352
	;; [unrolled: 1-line block ×3, first 2 shown]
.LBB0_19:
	s_or_b64 exec, exec, s[2:3]
	s_movk_i32 s10, 0x87
	v_mul_lo_u16_sdwa v28, v24, s10 dst_sel:DWORD dst_unused:UNUSED_PAD src0_sel:BYTE_0 src1_sel:DWORD
	v_sub_u16_sdwa v29, v24, v28 dst_sel:DWORD dst_unused:UNUSED_PAD src0_sel:DWORD src1_sel:BYTE_1
	v_lshrrev_b16_e32 v29, 1, v29
	v_and_b32_e32 v29, 0x7f, v29
	v_add_u16_sdwa v28, v29, v28 dst_sel:DWORD dst_unused:UNUSED_PAD src0_sel:DWORD src1_sel:BYTE_1
	v_lshrrev_b16_e32 v28, 4, v28
	v_and_b32_e32 v36, 15, v28
	v_mul_lo_u16_e32 v28, 21, v36
	v_sub_u16_e32 v37, v24, v28
	v_mov_b32_e32 v28, 5
	v_lshlrev_b32_sdwa v38, v28, v37 dst_sel:DWORD dst_unused:UNUSED_PAD src0_sel:DWORD src1_sel:BYTE_0
	global_load_dwordx4 v[28:31], v38, s[4:5] offset:224
	global_load_dwordx4 v[32:35], v38, s[4:5] offset:240
	s_movk_i32 s8, 0x3f0
	v_mov_b32_e32 v38, 4
	v_mul_u32_u24_sdwa v36, v36, s8 dst_sel:DWORD dst_unused:UNUSED_PAD src0_sel:WORD_0 src1_sel:DWORD
	v_lshlrev_b32_sdwa v37, v38, v37 dst_sel:DWORD dst_unused:UNUSED_PAD src0_sel:DWORD src1_sel:BYTE_0
	v_add3_u32 v40, 0, v36, v37
	s_mov_b32 s2, 0xe8584caa
	s_mov_b32 s3, 0x3febb67a
	;; [unrolled: 1-line block ×3, first 2 shown]
	s_waitcnt lgkmcnt(0)
	; wave barrier
	s_waitcnt vmcnt(1) lgkmcnt(0)
	v_mul_f64 v[36:37], v[22:23], v[30:31]
	v_mul_f64 v[30:31], v[20:21], v[30:31]
	s_waitcnt vmcnt(0)
	v_mul_f64 v[38:39], v[18:19], v[34:35]
	v_mul_f64 v[34:35], v[16:17], v[34:35]
	v_fma_f64 v[20:21], v[20:21], v[28:29], -v[36:37]
	v_fmac_f64_e32 v[30:31], v[22:23], v[28:29]
	v_fma_f64 v[16:17], v[16:17], v[32:33], -v[38:39]
	v_fmac_f64_e32 v[34:35], v[18:19], v[32:33]
	v_add_f64 v[18:19], v[12:13], v[20:21]
	v_add_f64 v[22:23], v[20:21], v[16:17]
	v_add_f64 v[28:29], v[30:31], -v[34:35]
	v_add_f64 v[32:33], v[14:15], v[30:31]
	v_add_f64 v[30:31], v[30:31], v[34:35]
	v_add_f64 v[36:37], v[20:21], -v[16:17]
	v_add_f64 v[16:17], v[18:19], v[16:17]
	v_fmac_f64_e32 v[12:13], -0.5, v[22:23]
	v_add_f64 v[18:19], v[32:33], v[34:35]
	v_fmac_f64_e32 v[14:15], -0.5, v[30:31]
	v_fma_f64 v[20:21], s[2:3], v[28:29], v[12:13]
	v_fmac_f64_e32 v[12:13], s[6:7], v[28:29]
	v_fma_f64 v[22:23], s[6:7], v[36:37], v[14:15]
	v_fmac_f64_e32 v[14:15], s[2:3], v[36:37]
	ds_write_b128 v40, v[16:19]
	ds_write_b128 v40, v[20:23] offset:336
	ds_write_b128 v40, v[12:15] offset:672
	s_and_saveexec_b64 s[8:9], s[0:1]
	s_cbranch_execz .LBB0_21
; %bb.20:
	v_mul_lo_u16_sdwa v12, v25, s10 dst_sel:DWORD dst_unused:UNUSED_PAD src0_sel:BYTE_0 src1_sel:DWORD
	v_sub_u16_sdwa v13, v25, v12 dst_sel:DWORD dst_unused:UNUSED_PAD src0_sel:DWORD src1_sel:BYTE_1
	v_lshrrev_b16_e32 v13, 1, v13
	v_and_b32_e32 v13, 0x7f, v13
	v_add_u16_sdwa v12, v13, v12 dst_sel:DWORD dst_unused:UNUSED_PAD src0_sel:DWORD src1_sel:BYTE_1
	v_lshrrev_b16_e32 v12, 4, v12
	v_and_b32_e32 v12, 15, v12
	v_mul_lo_u16_e32 v12, 21, v12
	v_sub_u16_e32 v12, v25, v12
	v_and_b32_e32 v20, 0xff, v12
	v_lshlrev_b32_e32 v21, 5, v20
	global_load_dwordx4 v[12:15], v21, s[4:5] offset:224
	global_load_dwordx4 v[16:19], v21, s[4:5] offset:240
	v_lshl_add_u32 v25, v20, 4, 0
	s_waitcnt vmcnt(1)
	v_mul_f64 v[20:21], v[10:11], v[14:15]
	s_waitcnt vmcnt(0)
	v_mul_f64 v[22:23], v[2:3], v[18:19]
	v_mul_f64 v[14:15], v[8:9], v[14:15]
	;; [unrolled: 1-line block ×3, first 2 shown]
	v_fma_f64 v[8:9], v[8:9], v[12:13], -v[20:21]
	v_fma_f64 v[20:21], v[0:1], v[16:17], -v[22:23]
	v_fmac_f64_e32 v[14:15], v[10:11], v[12:13]
	v_fmac_f64_e32 v[18:19], v[2:3], v[16:17]
	v_add_f64 v[12:13], v[8:9], -v[20:21]
	v_add_f64 v[0:1], v[14:15], v[18:19]
	v_add_f64 v[10:11], v[6:7], v[14:15]
	;; [unrolled: 1-line block ×4, first 2 shown]
	v_add_f64 v[14:15], v[14:15], -v[18:19]
	v_fma_f64 v[2:3], -0.5, v[0:1], v[6:7]
	v_add_f64 v[6:7], v[10:11], v[18:19]
	v_fma_f64 v[0:1], -0.5, v[16:17], v[4:5]
	v_add_f64 v[4:5], v[8:9], v[20:21]
	v_fma_f64 v[10:11], s[2:3], v[12:13], v[2:3]
	v_fmac_f64_e32 v[2:3], s[6:7], v[12:13]
	v_fma_f64 v[8:9], s[6:7], v[14:15], v[0:1]
	v_fmac_f64_e32 v[0:1], s[2:3], v[14:15]
	ds_write_b128 v25, v[4:7] offset:3024
	ds_write_b128 v25, v[0:3] offset:3360
	;; [unrolled: 1-line block ×3, first 2 shown]
.LBB0_21:
	s_or_b64 exec, exec, s[8:9]
	v_mul_u32_u24_e32 v0, 3, v24
	v_lshlrev_b32_e32 v12, 4, v0
	s_waitcnt lgkmcnt(0)
	; wave barrier
	s_waitcnt lgkmcnt(0)
	global_load_dwordx4 v[0:3], v12, s[4:5] offset:896
	global_load_dwordx4 v[4:7], v12, s[4:5] offset:912
	global_load_dwordx4 v[8:11], v12, s[4:5] offset:928
	ds_read_b128 v[12:15], v52
	ds_read_b128 v[16:19], v52 offset:1008
	ds_read_b128 v[20:23], v52 offset:2016
	;; [unrolled: 1-line block ×3, first 2 shown]
	s_waitcnt lgkmcnt(0)
	; wave barrier
	s_waitcnt vmcnt(2) lgkmcnt(0)
	v_mul_f64 v[32:33], v[18:19], v[2:3]
	v_mul_f64 v[2:3], v[16:17], v[2:3]
	s_waitcnt vmcnt(1)
	v_mul_f64 v[34:35], v[22:23], v[6:7]
	v_mul_f64 v[6:7], v[20:21], v[6:7]
	s_waitcnt vmcnt(0)
	v_mul_f64 v[36:37], v[30:31], v[10:11]
	v_mul_f64 v[10:11], v[28:29], v[10:11]
	v_fma_f64 v[16:17], v[16:17], v[0:1], -v[32:33]
	v_fmac_f64_e32 v[2:3], v[18:19], v[0:1]
	v_fma_f64 v[0:1], v[20:21], v[4:5], -v[34:35]
	v_fmac_f64_e32 v[6:7], v[22:23], v[4:5]
	;; [unrolled: 2-line block ×3, first 2 shown]
	v_add_f64 v[8:9], v[12:13], -v[0:1]
	v_add_f64 v[18:19], v[14:15], -v[6:7]
	;; [unrolled: 1-line block ×4, first 2 shown]
	v_fma_f64 v[12:13], v[12:13], 2.0, -v[8:9]
	v_fma_f64 v[14:15], v[14:15], 2.0, -v[18:19]
	;; [unrolled: 1-line block ×4, first 2 shown]
	v_add_f64 v[0:1], v[8:9], -v[0:1]
	v_add_f64 v[2:3], v[18:19], v[4:5]
	v_add_f64 v[4:5], v[12:13], -v[6:7]
	v_add_f64 v[6:7], v[14:15], -v[10:11]
	v_fma_f64 v[8:9], v[8:9], 2.0, -v[0:1]
	v_fma_f64 v[10:11], v[18:19], 2.0, -v[2:3]
	ds_write_b128 v52, v[0:3] offset:3024
	v_fma_f64 v[0:1], v[12:13], 2.0, -v[4:5]
	v_fma_f64 v[2:3], v[14:15], 2.0, -v[6:7]
	ds_write_b128 v52, v[8:11] offset:1008
	ds_write_b128 v52, v[4:7] offset:2016
	ds_write_b128 v52, v[0:3]
	s_waitcnt lgkmcnt(0)
	; wave barrier
	s_waitcnt lgkmcnt(0)
	s_and_saveexec_b64 s[0:1], vcc
	s_cbranch_execz .LBB0_23
; %bb.22:
	ds_read_b128 v[0:3], v52
	ds_read_b128 v[4:7], v52 offset:1008
	ds_read_b128 v[8:11], v52 offset:2016
	;; [unrolled: 1-line block ×3, first 2 shown]
	v_mov_b32_e32 v25, 0
	v_lshl_add_u64 v[16:17], v[24:25], 4, v[26:27]
	s_waitcnt lgkmcnt(3)
	global_store_dwordx4 v[16:17], v[0:3], off
	s_waitcnt lgkmcnt(2)
	global_store_dwordx4 v[16:17], v[4:7], off offset:1008
	s_waitcnt lgkmcnt(1)
	global_store_dwordx4 v[16:17], v[8:11], off offset:2016
	;; [unrolled: 2-line block ×3, first 2 shown]
.LBB0_23:
	s_endpgm
	.section	.rodata,"a",@progbits
	.p2align	6, 0x0
	.amdhsa_kernel fft_rtc_fwd_len252_factors_7_3_3_4_wgs_63_tpt_63_dp_ip_CI_unitstride_sbrr_dirReg
		.amdhsa_group_segment_fixed_size 0
		.amdhsa_private_segment_fixed_size 0
		.amdhsa_kernarg_size 88
		.amdhsa_user_sgpr_count 2
		.amdhsa_user_sgpr_dispatch_ptr 0
		.amdhsa_user_sgpr_queue_ptr 0
		.amdhsa_user_sgpr_kernarg_segment_ptr 1
		.amdhsa_user_sgpr_dispatch_id 0
		.amdhsa_user_sgpr_kernarg_preload_length 0
		.amdhsa_user_sgpr_kernarg_preload_offset 0
		.amdhsa_user_sgpr_private_segment_size 0
		.amdhsa_uses_dynamic_stack 0
		.amdhsa_enable_private_segment 0
		.amdhsa_system_sgpr_workgroup_id_x 1
		.amdhsa_system_sgpr_workgroup_id_y 0
		.amdhsa_system_sgpr_workgroup_id_z 0
		.amdhsa_system_sgpr_workgroup_info 0
		.amdhsa_system_vgpr_workitem_id 0
		.amdhsa_next_free_vgpr 58
		.amdhsa_next_free_sgpr 22
		.amdhsa_accum_offset 60
		.amdhsa_reserve_vcc 1
		.amdhsa_float_round_mode_32 0
		.amdhsa_float_round_mode_16_64 0
		.amdhsa_float_denorm_mode_32 3
		.amdhsa_float_denorm_mode_16_64 3
		.amdhsa_dx10_clamp 1
		.amdhsa_ieee_mode 1
		.amdhsa_fp16_overflow 0
		.amdhsa_tg_split 0
		.amdhsa_exception_fp_ieee_invalid_op 0
		.amdhsa_exception_fp_denorm_src 0
		.amdhsa_exception_fp_ieee_div_zero 0
		.amdhsa_exception_fp_ieee_overflow 0
		.amdhsa_exception_fp_ieee_underflow 0
		.amdhsa_exception_fp_ieee_inexact 0
		.amdhsa_exception_int_div_zero 0
	.end_amdhsa_kernel
	.text
.Lfunc_end0:
	.size	fft_rtc_fwd_len252_factors_7_3_3_4_wgs_63_tpt_63_dp_ip_CI_unitstride_sbrr_dirReg, .Lfunc_end0-fft_rtc_fwd_len252_factors_7_3_3_4_wgs_63_tpt_63_dp_ip_CI_unitstride_sbrr_dirReg
                                        ; -- End function
	.section	.AMDGPU.csdata,"",@progbits
; Kernel info:
; codeLenInByte = 4088
; NumSgprs: 28
; NumVgprs: 58
; NumAgprs: 0
; TotalNumVgprs: 58
; ScratchSize: 0
; MemoryBound: 0
; FloatMode: 240
; IeeeMode: 1
; LDSByteSize: 0 bytes/workgroup (compile time only)
; SGPRBlocks: 3
; VGPRBlocks: 7
; NumSGPRsForWavesPerEU: 28
; NumVGPRsForWavesPerEU: 58
; AccumOffset: 60
; Occupancy: 8
; WaveLimiterHint : 1
; COMPUTE_PGM_RSRC2:SCRATCH_EN: 0
; COMPUTE_PGM_RSRC2:USER_SGPR: 2
; COMPUTE_PGM_RSRC2:TRAP_HANDLER: 0
; COMPUTE_PGM_RSRC2:TGID_X_EN: 1
; COMPUTE_PGM_RSRC2:TGID_Y_EN: 0
; COMPUTE_PGM_RSRC2:TGID_Z_EN: 0
; COMPUTE_PGM_RSRC2:TIDIG_COMP_CNT: 0
; COMPUTE_PGM_RSRC3_GFX90A:ACCUM_OFFSET: 14
; COMPUTE_PGM_RSRC3_GFX90A:TG_SPLIT: 0
	.text
	.p2alignl 6, 3212836864
	.fill 256, 4, 3212836864
	.type	__hip_cuid_a3b393c3293cf58b,@object ; @__hip_cuid_a3b393c3293cf58b
	.section	.bss,"aw",@nobits
	.globl	__hip_cuid_a3b393c3293cf58b
__hip_cuid_a3b393c3293cf58b:
	.byte	0                               ; 0x0
	.size	__hip_cuid_a3b393c3293cf58b, 1

	.ident	"AMD clang version 19.0.0git (https://github.com/RadeonOpenCompute/llvm-project roc-6.4.0 25133 c7fe45cf4b819c5991fe208aaa96edf142730f1d)"
	.section	".note.GNU-stack","",@progbits
	.addrsig
	.addrsig_sym __hip_cuid_a3b393c3293cf58b
	.amdgpu_metadata
---
amdhsa.kernels:
  - .agpr_count:     0
    .args:
      - .actual_access:  read_only
        .address_space:  global
        .offset:         0
        .size:           8
        .value_kind:     global_buffer
      - .offset:         8
        .size:           8
        .value_kind:     by_value
      - .actual_access:  read_only
        .address_space:  global
        .offset:         16
        .size:           8
        .value_kind:     global_buffer
      - .actual_access:  read_only
        .address_space:  global
        .offset:         24
        .size:           8
        .value_kind:     global_buffer
      - .offset:         32
        .size:           8
        .value_kind:     by_value
      - .actual_access:  read_only
        .address_space:  global
        .offset:         40
        .size:           8
        .value_kind:     global_buffer
      - .actual_access:  read_only
        .address_space:  global
        .offset:         48
        .size:           8
        .value_kind:     global_buffer
      - .offset:         56
        .size:           4
        .value_kind:     by_value
      - .actual_access:  read_only
        .address_space:  global
        .offset:         64
        .size:           8
        .value_kind:     global_buffer
      - .actual_access:  read_only
        .address_space:  global
        .offset:         72
        .size:           8
        .value_kind:     global_buffer
      - .address_space:  global
        .offset:         80
        .size:           8
        .value_kind:     global_buffer
    .group_segment_fixed_size: 0
    .kernarg_segment_align: 8
    .kernarg_segment_size: 88
    .language:       OpenCL C
    .language_version:
      - 2
      - 0
    .max_flat_workgroup_size: 63
    .name:           fft_rtc_fwd_len252_factors_7_3_3_4_wgs_63_tpt_63_dp_ip_CI_unitstride_sbrr_dirReg
    .private_segment_fixed_size: 0
    .sgpr_count:     28
    .sgpr_spill_count: 0
    .symbol:         fft_rtc_fwd_len252_factors_7_3_3_4_wgs_63_tpt_63_dp_ip_CI_unitstride_sbrr_dirReg.kd
    .uniform_work_group_size: 1
    .uses_dynamic_stack: false
    .vgpr_count:     58
    .vgpr_spill_count: 0
    .wavefront_size: 64
amdhsa.target:   amdgcn-amd-amdhsa--gfx950
amdhsa.version:
  - 1
  - 2
...

	.end_amdgpu_metadata
